;; amdgpu-corpus repo=ROCm/rocFFT kind=compiled arch=gfx906 opt=O3
	.text
	.amdgcn_target "amdgcn-amd-amdhsa--gfx906"
	.amdhsa_code_object_version 6
	.protected	bluestein_single_back_len216_dim1_sp_op_CI_CI ; -- Begin function bluestein_single_back_len216_dim1_sp_op_CI_CI
	.globl	bluestein_single_back_len216_dim1_sp_op_CI_CI
	.p2align	8
	.type	bluestein_single_back_len216_dim1_sp_op_CI_CI,@function
bluestein_single_back_len216_dim1_sp_op_CI_CI: ; @bluestein_single_back_len216_dim1_sp_op_CI_CI
; %bb.0:
	v_mul_u32_u24_e32 v1, 0x71d, v0
	s_load_dwordx4 s[12:15], s[4:5], 0x28
	v_lshrrev_b32_e32 v1, 16, v1
	v_mad_u64_u32 v[16:17], s[0:1], s6, 7, v[1:2]
	v_mov_b32_e32 v17, 0
	s_waitcnt lgkmcnt(0)
	v_cmp_gt_u64_e32 vcc, s[12:13], v[16:17]
	s_and_saveexec_b64 s[0:1], vcc
	s_cbranch_execz .LBB0_2
; %bb.1:
	s_load_dwordx4 s[0:3], s[4:5], 0x18
	s_load_dwordx4 s[8:11], s[4:5], 0x0
	v_mul_lo_u16_e32 v1, 36, v1
	v_sub_u16_e32 v33, v0, v1
	v_mov_b32_e32 v7, s15
	s_waitcnt lgkmcnt(0)
	s_load_dwordx4 s[16:19], s[0:1], 0x0
	s_add_u32 s6, s8, 0x6c0
	s_addc_u32 s7, s9, 0
	v_lshlrev_b32_e32 v35, 3, v33
	s_movk_i32 s12, 0xab
	s_waitcnt lgkmcnt(0)
	v_mad_u64_u32 v[0:1], s[0:1], s18, v16, 0
	v_mad_u64_u32 v[2:3], s[0:1], s16, v33, 0
	v_mad_u64_u32 v[4:5], s[0:1], s19, v16, v[1:2]
	v_mad_u64_u32 v[5:6], s[0:1], s17, v33, v[3:4]
	v_mov_b32_e32 v1, v4
	v_lshlrev_b64 v[0:1], 3, v[0:1]
	v_mov_b32_e32 v3, v5
	v_add_co_u32_e32 v4, vcc, s14, v0
	v_addc_co_u32_e32 v5, vcc, v7, v1, vcc
	v_lshlrev_b64 v[0:1], 3, v[2:3]
	s_mul_i32 s0, s17, 0x120
	v_add_co_u32_e32 v0, vcc, v4, v0
	s_mul_hi_u32 s1, s16, 0x120
	v_addc_co_u32_e32 v1, vcc, v5, v1, vcc
	s_add_i32 s0, s1, s0
	s_mul_i32 s1, s16, 0x120
	global_load_dwordx2 v[2:3], v[0:1], off
	v_mov_b32_e32 v4, s0
	v_add_co_u32_e32 v0, vcc, s1, v0
	v_addc_co_u32_e32 v1, vcc, v1, v4, vcc
	v_mov_b32_e32 v5, s0
	v_add_co_u32_e32 v4, vcc, s1, v0
	v_addc_co_u32_e32 v5, vcc, v1, v5, vcc
	global_load_dwordx2 v[27:28], v35, s[8:9]
	global_load_dwordx2 v[25:26], v35, s[8:9] offset:288
	global_load_dwordx2 v[6:7], v[0:1], off
	global_load_dwordx2 v[8:9], v[4:5], off
	v_mov_b32_e32 v1, s0
	v_add_co_u32_e32 v0, vcc, s1, v4
	v_addc_co_u32_e32 v1, vcc, v5, v1, vcc
	v_mov_b32_e32 v5, s0
	v_add_co_u32_e32 v4, vcc, s1, v0
	global_load_dwordx2 v[23:24], v35, s[8:9] offset:576
	global_load_dwordx2 v[21:22], v35, s[8:9] offset:864
	v_addc_co_u32_e32 v5, vcc, v1, v5, vcc
	global_load_dwordx2 v[10:11], v[0:1], off
	global_load_dwordx2 v[12:13], v[4:5], off
	global_load_dwordx2 v[19:20], v35, s[8:9] offset:1152
	v_mov_b32_e32 v1, s0
	v_add_co_u32_e32 v0, vcc, s1, v4
	v_addc_co_u32_e32 v1, vcc, v5, v1, vcc
	global_load_dwordx2 v[17:18], v35, s[8:9] offset:1440
	global_load_dwordx2 v[4:5], v[0:1], off
	s_mov_b32 s0, 0x24924925
	v_mul_hi_u32 v0, v16, s0
	s_load_dwordx4 s[0:3], s[2:3], 0x0
	v_sub_u32_e32 v1, v16, v0
	v_lshrrev_b32_e32 v1, 1, v1
	v_add_u32_e32 v0, v1, v0
	v_lshrrev_b32_e32 v0, 2, v0
	v_mul_lo_u32 v0, v0, 7
	v_sub_u32_e32 v0, v16, v0
	v_mul_u32_u24_e32 v0, 0xd8, v0
	v_lshlrev_b32_e32 v37, 3, v0
	v_add_u32_e32 v34, v35, v37
	s_waitcnt vmcnt(10)
	v_mul_f32_e32 v0, v3, v28
	v_mul_f32_e32 v1, v2, v28
	v_fmac_f32_e32 v0, v2, v27
	v_fma_f32 v1, v3, v27, -v1
	s_waitcnt vmcnt(8)
	v_mul_f32_e32 v2, v7, v26
	v_mul_f32_e32 v3, v6, v26
	v_fmac_f32_e32 v2, v6, v25
	v_fma_f32 v3, v7, v25, -v3
	ds_write2_b64 v34, v[0:1], v[2:3] offset1:36
	s_waitcnt vmcnt(6)
	v_mul_f32_e32 v6, v9, v24
	v_mul_f32_e32 v7, v8, v24
	s_waitcnt vmcnt(4)
	v_mul_f32_e32 v0, v11, v22
	v_mul_f32_e32 v1, v10, v22
	v_fmac_f32_e32 v6, v8, v23
	v_fma_f32 v7, v9, v23, -v7
	v_fmac_f32_e32 v0, v10, v21
	v_fma_f32 v1, v11, v21, -v1
	s_waitcnt vmcnt(2)
	v_mul_f32_e32 v2, v13, v20
	v_mul_f32_e32 v3, v12, v20
	ds_write2_b64 v34, v[6:7], v[0:1] offset0:72 offset1:108
	s_waitcnt vmcnt(0)
	v_mul_f32_e32 v0, v5, v18
	v_mul_f32_e32 v1, v4, v18
	v_fmac_f32_e32 v2, v12, v19
	v_fma_f32 v3, v13, v19, -v3
	v_fmac_f32_e32 v0, v4, v17
	v_fma_f32 v1, v5, v17, -v1
	ds_write2_b64 v34, v[2:3], v[0:1] offset0:144 offset1:180
	s_waitcnt lgkmcnt(0)
	s_barrier
	ds_read2_b64 v[0:3], v34 offset1:36
	ds_read2_b64 v[4:7], v34 offset0:72 offset1:108
	ds_read2_b64 v[8:11], v34 offset0:144 offset1:180
	s_waitcnt lgkmcnt(0)
	s_barrier
	v_add_f32_e32 v12, v0, v4
	v_add_f32_e32 v13, v4, v8
	v_fma_f32 v13, -0.5, v13, v0
	v_sub_f32_e32 v0, v5, v9
	v_mov_b32_e32 v14, v13
	v_fmac_f32_e32 v14, 0x3f5db3d7, v0
	v_fmac_f32_e32 v13, 0xbf5db3d7, v0
	v_add_f32_e32 v0, v1, v5
	v_add_f32_e32 v15, v0, v9
	;; [unrolled: 1-line block ×3, first 2 shown]
	v_fma_f32 v29, -0.5, v0, v1
	v_sub_f32_e32 v0, v4, v8
	v_mov_b32_e32 v9, v29
	v_fmac_f32_e32 v9, 0xbf5db3d7, v0
	v_fmac_f32_e32 v29, 0x3f5db3d7, v0
	v_add_f32_e32 v0, v2, v6
	v_add_f32_e32 v12, v12, v8
	;; [unrolled: 1-line block ×4, first 2 shown]
	v_fma_f32 v1, -0.5, v0, v2
	v_sub_f32_e32 v0, v7, v11
	v_mov_b32_e32 v2, v1
	v_fmac_f32_e32 v2, 0x3f5db3d7, v0
	v_fmac_f32_e32 v1, 0xbf5db3d7, v0
	v_add_f32_e32 v0, v3, v7
	v_add_f32_e32 v30, v0, v11
	;; [unrolled: 1-line block ×3, first 2 shown]
	v_fmac_f32_e32 v3, -0.5, v0
	v_sub_f32_e32 v0, v6, v10
	v_mov_b32_e32 v7, v3
	v_fmac_f32_e32 v7, 0xbf5db3d7, v0
	v_fmac_f32_e32 v3, 0x3f5db3d7, v0
	v_mul_f32_e32 v10, 0x3f5db3d7, v7
	v_mul_f32_e32 v11, -0.5, v1
	v_mul_f32_e32 v31, 0xbf5db3d7, v2
	v_add_f32_e32 v4, v12, v8
	v_fmac_f32_e32 v10, 0.5, v2
	v_fmac_f32_e32 v11, 0x3f5db3d7, v3
	v_fmac_f32_e32 v31, 0.5, v7
	v_mul_f32_e32 v32, -0.5, v3
	v_sub_f32_e32 v2, v12, v8
	v_mul_lo_u16_e32 v12, 6, v33
	v_add_f32_e32 v6, v14, v10
	v_add_f32_e32 v0, v13, v11
	;; [unrolled: 1-line block ×4, first 2 shown]
	v_fmac_f32_e32 v32, 0xbf5db3d7, v1
	v_lshl_add_u32 v36, v12, 3, v37
	v_add_f32_e32 v1, v29, v32
	v_sub_f32_e32 v8, v14, v10
	v_sub_f32_e32 v10, v13, v11
	;; [unrolled: 1-line block ×5, first 2 shown]
	ds_write_b128 v36, v[4:7]
	ds_write_b128 v36, v[0:3] offset:16
	ds_write_b128 v36, v[8:11] offset:32
	v_mul_lo_u16_sdwa v0, v33, s12 dst_sel:DWORD dst_unused:UNUSED_PAD src0_sel:BYTE_0 src1_sel:DWORD
	v_lshrrev_b16_e32 v40, 10, v0
	v_mul_lo_u16_e32 v0, 6, v40
	v_sub_u16_e32 v0, v33, v0
	v_and_b32_e32 v41, 0xff, v0
	v_mad_u64_u32 v[8:9], s[12:13], v41, 40, s[10:11]
	s_waitcnt lgkmcnt(0)
	s_barrier
	global_load_dwordx4 v[0:3], v[8:9], off
	global_load_dwordx4 v[4:7], v[8:9], off offset:16
	global_load_dwordx2 v[29:30], v[8:9], off offset:32
	ds_read2_b64 v[8:11], v34 offset0:72 offset1:108
	ds_read2_b64 v[12:15], v34 offset0:144 offset1:180
	v_mul_u32_u24_e32 v40, 36, v40
	v_add_u32_e32 v40, v40, v41
	v_lshl_add_u32 v37, v40, 3, v37
	s_waitcnt vmcnt(2) lgkmcnt(1)
	v_mul_f32_e32 v31, v9, v3
	v_mul_f32_e32 v32, v8, v3
	s_waitcnt vmcnt(1)
	v_mul_f32_e32 v38, v11, v5
	v_mul_f32_e32 v39, v10, v5
	v_fma_f32 v31, v8, v2, -v31
	v_fmac_f32_e32 v32, v9, v2
	v_fma_f32 v38, v10, v4, -v38
	v_fmac_f32_e32 v39, v11, v4
	ds_read2_b64 v[8:11], v34 offset1:36
	s_waitcnt lgkmcnt(1)
	v_mul_f32_e32 v43, v12, v7
	v_mul_f32_e32 v42, v13, v7
	v_fmac_f32_e32 v43, v13, v6
	s_waitcnt vmcnt(0)
	v_mul_f32_e32 v13, v15, v30
	v_fma_f32 v13, v14, v29, -v13
	v_mul_f32_e32 v14, v14, v30
	v_fma_f32 v12, v12, v6, -v42
	v_fmac_f32_e32 v14, v15, v29
	s_waitcnt lgkmcnt(0)
	v_mul_f32_e32 v15, v11, v1
	v_fma_f32 v42, v10, v0, -v15
	v_mul_f32_e32 v44, v10, v1
	v_add_f32_e32 v10, v31, v12
	v_fma_f32 v45, -0.5, v10, v8
	v_add_f32_e32 v10, v32, v43
	v_add_f32_e32 v8, v8, v31
	v_fma_f32 v46, -0.5, v10, v9
	v_add_f32_e32 v10, v8, v12
	v_sub_f32_e32 v31, v31, v12
	v_add_f32_e32 v12, v38, v13
	v_fmac_f32_e32 v44, v11, v0
	v_add_f32_e32 v8, v42, v38
	v_fmac_f32_e32 v42, -0.5, v12
	v_add_f32_e32 v12, v39, v14
	v_add_f32_e32 v15, v8, v13
	;; [unrolled: 1-line block ×3, first 2 shown]
	v_fmac_f32_e32 v44, -0.5, v12
	v_add_f32_e32 v9, v9, v32
	v_sub_f32_e32 v38, v38, v13
	v_mov_b32_e32 v13, v44
	v_add_f32_e32 v11, v9, v43
	v_sub_f32_e32 v32, v32, v43
	v_sub_f32_e32 v43, v39, v14
	v_mov_b32_e32 v12, v42
	v_fmac_f32_e32 v13, 0xbf5db3d7, v38
	v_add_f32_e32 v47, v8, v14
	v_fmac_f32_e32 v12, 0x3f5db3d7, v43
	v_mul_f32_e32 v14, 0x3f5db3d7, v13
	v_mov_b32_e32 v39, v45
	v_fmac_f32_e32 v14, 0.5, v12
	v_fmac_f32_e32 v39, 0x3f5db3d7, v32
	v_fmac_f32_e32 v42, 0xbf5db3d7, v43
	;; [unrolled: 1-line block ×3, first 2 shown]
	v_add_f32_e32 v8, v10, v15
	v_add_f32_e32 v9, v11, v47
	v_sub_f32_e32 v10, v10, v15
	v_sub_f32_e32 v11, v11, v47
	v_mul_f32_e32 v15, 0xbf5db3d7, v12
	v_mov_b32_e32 v47, v46
	v_add_f32_e32 v12, v39, v14
	v_sub_f32_e32 v14, v39, v14
	v_mul_f32_e32 v38, -0.5, v42
	v_mul_f32_e32 v39, -0.5, v44
	v_fmac_f32_e32 v15, 0.5, v13
	v_fmac_f32_e32 v47, 0xbf5db3d7, v31
	v_fmac_f32_e32 v45, 0xbf5db3d7, v32
	;; [unrolled: 1-line block ×5, first 2 shown]
	v_add_f32_e32 v13, v47, v15
	v_add_f32_e32 v31, v45, v38
	;; [unrolled: 1-line block ×3, first 2 shown]
	v_sub_f32_e32 v38, v45, v38
	v_sub_f32_e32 v39, v46, v39
	;; [unrolled: 1-line block ×3, first 2 shown]
	s_barrier
	ds_write2_b64 v37, v[8:9], v[12:13] offset1:6
	ds_write2_b64 v37, v[31:32], v[10:11] offset0:12 offset1:18
	ds_write2_b64 v37, v[14:15], v[38:39] offset0:24 offset1:30
	v_mad_u64_u32 v[38:39], s[10:11], v33, 40, s[10:11]
	s_waitcnt lgkmcnt(0)
	s_barrier
	global_load_dwordx4 v[12:15], v[38:39], off offset:240
	global_load_dwordx4 v[8:11], v[38:39], off offset:256
	global_load_dwordx2 v[31:32], v[38:39], off offset:272
	ds_read2_b64 v[38:41], v34 offset0:72 offset1:108
	ds_read2_b64 v[42:45], v34 offset0:144 offset1:180
	s_waitcnt vmcnt(2) lgkmcnt(1)
	v_mul_f32_e32 v46, v39, v15
	v_mul_f32_e32 v47, v38, v15
	s_waitcnt vmcnt(1)
	v_mul_f32_e32 v48, v41, v9
	v_mul_f32_e32 v49, v40, v9
	v_fma_f32 v46, v38, v14, -v46
	v_fmac_f32_e32 v47, v39, v14
	v_fma_f32 v48, v40, v8, -v48
	v_fmac_f32_e32 v49, v41, v8
	ds_read2_b64 v[38:41], v34 offset1:36
	s_waitcnt lgkmcnt(1)
	v_mul_f32_e32 v50, v43, v11
	v_fma_f32 v50, v42, v10, -v50
	v_mul_f32_e32 v42, v42, v11
	v_fmac_f32_e32 v42, v43, v10
	s_waitcnt vmcnt(0)
	v_mul_f32_e32 v43, v45, v32
	v_fma_f32 v43, v44, v31, -v43
	v_mul_f32_e32 v44, v44, v32
	v_fmac_f32_e32 v44, v45, v31
	s_waitcnt lgkmcnt(0)
	v_mul_f32_e32 v45, v41, v13
	v_fma_f32 v45, v40, v12, -v45
	v_mul_f32_e32 v51, v40, v13
	v_add_f32_e32 v40, v46, v50
	v_fma_f32 v52, -0.5, v40, v38
	v_add_f32_e32 v40, v47, v42
	v_fma_f32 v53, -0.5, v40, v39
	v_add_f32_e32 v39, v39, v47
	v_fmac_f32_e32 v51, v41, v12
	v_add_f32_e32 v38, v38, v46
	v_sub_f32_e32 v47, v47, v42
	v_add_f32_e32 v42, v39, v42
	v_add_f32_e32 v39, v48, v43
	v_add_f32_e32 v54, v38, v50
	v_add_f32_e32 v38, v45, v48
	v_fmac_f32_e32 v45, -0.5, v39
	v_add_f32_e32 v39, v51, v49
	v_sub_f32_e32 v46, v46, v50
	v_add_f32_e32 v50, v39, v44
	v_add_f32_e32 v39, v49, v44
	v_fmac_f32_e32 v51, -0.5, v39
	v_sub_f32_e32 v55, v49, v44
	v_add_f32_e32 v44, v38, v43
	v_sub_f32_e32 v43, v48, v43
	v_mov_b32_e32 v38, v45
	v_mov_b32_e32 v39, v51
	v_fmac_f32_e32 v38, 0x3f5db3d7, v55
	v_fmac_f32_e32 v39, 0xbf5db3d7, v43
	v_mul_f32_e32 v48, 0x3f5db3d7, v39
	v_mul_f32_e32 v49, 0xbf5db3d7, v38
	v_mov_b32_e32 v56, v52
	v_mov_b32_e32 v57, v53
	v_fmac_f32_e32 v48, 0.5, v38
	v_fmac_f32_e32 v49, 0.5, v39
	v_fmac_f32_e32 v56, 0x3f5db3d7, v47
	v_fmac_f32_e32 v57, 0xbf5db3d7, v46
	v_add_f32_e32 v38, v54, v44
	v_add_f32_e32 v39, v42, v50
	;; [unrolled: 1-line block ×4, first 2 shown]
	v_fmac_f32_e32 v45, 0xbf5db3d7, v55
	v_fmac_f32_e32 v51, 0x3f5db3d7, v43
	ds_write2_b64 v34, v[38:39], v[40:41] offset1:36
	v_sub_f32_e32 v39, v42, v50
	v_mul_f32_e32 v42, -0.5, v45
	v_mul_f32_e32 v43, -0.5, v51
	v_fmac_f32_e32 v52, 0xbf5db3d7, v47
	v_fmac_f32_e32 v53, 0x3f5db3d7, v46
	;; [unrolled: 1-line block ×4, first 2 shown]
	v_sub_f32_e32 v38, v54, v44
	v_add_f32_e32 v40, v52, v42
	v_add_f32_e32 v41, v53, v43
	ds_write2_b64 v34, v[40:41], v[38:39] offset0:72 offset1:108
	v_sub_f32_e32 v38, v56, v48
	v_sub_f32_e32 v39, v57, v49
	;; [unrolled: 1-line block ×4, first 2 shown]
	ds_write2_b64 v34, v[38:39], v[40:41] offset0:144 offset1:180
	s_waitcnt lgkmcnt(0)
	s_barrier
	global_load_dwordx2 v[46:47], v35, s[8:9] offset:1728
	global_load_dwordx2 v[48:49], v35, s[6:7] offset:288
	;; [unrolled: 1-line block ×6, first 2 shown]
	ds_read2_b64 v[38:41], v34 offset1:36
	ds_read2_b64 v[42:45], v34 offset0:72 offset1:108
	s_waitcnt vmcnt(5) lgkmcnt(1)
	v_mul_f32_e32 v35, v39, v47
	v_fma_f32 v58, v38, v46, -v35
	v_mul_f32_e32 v59, v38, v47
	s_waitcnt vmcnt(4)
	v_mul_f32_e32 v35, v41, v49
	v_mul_f32_e32 v47, v40, v49
	v_fmac_f32_e32 v59, v39, v46
	v_fma_f32 v46, v40, v48, -v35
	v_fmac_f32_e32 v47, v41, v48
	ds_read2_b64 v[38:41], v34 offset0:144 offset1:180
	s_waitcnt vmcnt(3) lgkmcnt(1)
	v_mul_f32_e32 v35, v43, v51
	v_mul_f32_e32 v49, v42, v51
	v_fma_f32 v48, v42, v50, -v35
	v_fmac_f32_e32 v49, v43, v50
	s_waitcnt vmcnt(2)
	v_mul_f32_e32 v35, v45, v53
	v_mul_f32_e32 v43, v44, v53
	v_fma_f32 v42, v44, v52, -v35
	v_fmac_f32_e32 v43, v45, v52
	s_waitcnt vmcnt(1) lgkmcnt(0)
	v_mul_f32_e32 v35, v39, v55
	v_mul_f32_e32 v45, v38, v55
	v_fma_f32 v44, v38, v54, -v35
	v_fmac_f32_e32 v45, v39, v54
	s_waitcnt vmcnt(0)
	v_mul_f32_e32 v35, v41, v57
	v_mul_f32_e32 v39, v40, v57
	v_fma_f32 v38, v40, v56, -v35
	v_fmac_f32_e32 v39, v41, v56
	ds_write2_b64 v34, v[58:59], v[46:47] offset1:36
	ds_write2_b64 v34, v[48:49], v[42:43] offset0:72 offset1:108
	ds_write2_b64 v34, v[44:45], v[38:39] offset0:144 offset1:180
	s_waitcnt lgkmcnt(0)
	s_barrier
	ds_read2_b64 v[38:41], v34 offset1:36
	ds_read2_b64 v[42:45], v34 offset0:72 offset1:108
	ds_read2_b64 v[46:49], v34 offset0:144 offset1:180
	s_waitcnt lgkmcnt(0)
	s_barrier
	v_add_f32_e32 v56, v41, v45
	v_sub_f32_e32 v55, v45, v49
	v_add_f32_e32 v45, v45, v49
	v_add_f32_e32 v35, v38, v42
	;; [unrolled: 1-line block ×4, first 2 shown]
	v_sub_f32_e32 v53, v42, v46
	v_add_f32_e32 v42, v40, v44
	v_add_f32_e32 v54, v44, v48
	v_fmac_f32_e32 v41, -0.5, v45
	v_sub_f32_e32 v51, v43, v47
	v_add_f32_e32 v43, v43, v47
	v_sub_f32_e32 v57, v44, v48
	v_add_f32_e32 v35, v35, v46
	v_add_f32_e32 v46, v52, v47
	;; [unrolled: 1-line block ×4, first 2 shown]
	v_fma_f32 v49, -0.5, v54, v40
	v_mov_b32_e32 v42, v41
	v_mov_b32_e32 v40, v49
	v_fmac_f32_e32 v42, 0x3f5db3d7, v57
	v_fma_f32 v50, -0.5, v50, v38
	v_fma_f32 v58, -0.5, v43, v39
	v_fmac_f32_e32 v40, 0xbf5db3d7, v55
	v_mul_f32_e32 v52, 0xbf5db3d7, v42
	v_mul_f32_e32 v54, 0.5, v42
	v_mov_b32_e32 v56, v50
	v_mov_b32_e32 v59, v58
	v_fmac_f32_e32 v52, 0.5, v40
	v_fmac_f32_e32 v54, 0x3f5db3d7, v40
	v_fmac_f32_e32 v56, 0xbf5db3d7, v51
	v_fmac_f32_e32 v59, 0x3f5db3d7, v53
	v_add_f32_e32 v42, v35, v47
	v_add_f32_e32 v44, v56, v52
	;; [unrolled: 1-line block ×4, first 2 shown]
	v_fmac_f32_e32 v41, 0xbf5db3d7, v57
	ds_write_b128 v36, v[42:45]
	v_mul_f32_e32 v42, 0xbf5db3d7, v41
	v_mul_f32_e32 v43, -0.5, v41
	v_fmac_f32_e32 v49, 0x3f5db3d7, v55
	v_fmac_f32_e32 v50, 0x3f5db3d7, v51
	;; [unrolled: 1-line block ×3, first 2 shown]
	v_fmac_f32_e32 v42, -0.5, v49
	v_fmac_f32_e32 v43, 0x3f5db3d7, v49
	v_sub_f32_e32 v40, v35, v47
	v_sub_f32_e32 v41, v46, v48
	v_add_f32_e32 v38, v50, v42
	v_add_f32_e32 v39, v58, v43
	ds_write_b128 v36, v[38:41] offset:16
	v_sub_f32_e32 v38, v56, v52
	v_sub_f32_e32 v40, v50, v42
	;; [unrolled: 1-line block ×4, first 2 shown]
	ds_write_b128 v36, v[38:41] offset:32
	s_waitcnt lgkmcnt(0)
	s_barrier
	ds_read2_b64 v[38:41], v34 offset0:144 offset1:180
	ds_read2_b64 v[42:45], v34 offset0:72 offset1:108
	s_waitcnt lgkmcnt(1)
	v_mul_f32_e32 v35, v7, v39
	v_fmac_f32_e32 v35, v6, v38
	v_mul_f32_e32 v36, v30, v41
	v_mul_f32_e32 v30, v30, v40
	;; [unrolled: 1-line block ×3, first 2 shown]
	s_waitcnt lgkmcnt(0)
	v_mul_f32_e32 v38, v5, v45
	v_mul_f32_e32 v5, v5, v44
	v_fmac_f32_e32 v36, v29, v40
	v_fma_f32 v29, v29, v41, -v30
	v_fma_f32 v30, v6, v39, -v7
	v_fmac_f32_e32 v38, v4, v44
	v_fma_f32 v39, v4, v45, -v5
	ds_read2_b64 v[4:7], v34 offset1:36
	v_mul_f32_e32 v40, v3, v43
	v_fmac_f32_e32 v40, v2, v42
	v_mul_f32_e32 v3, v3, v42
	v_fma_f32 v2, v2, v43, -v3
	s_waitcnt lgkmcnt(0)
	v_mul_f32_e32 v41, v1, v7
	v_mul_f32_e32 v1, v1, v6
	v_fmac_f32_e32 v41, v0, v6
	v_fma_f32 v7, v0, v7, -v1
	v_add_f32_e32 v0, v40, v35
	v_fma_f32 v42, -0.5, v0, v4
	v_sub_f32_e32 v0, v2, v30
	v_mov_b32_e32 v43, v42
	v_fmac_f32_e32 v43, 0xbf5db3d7, v0
	v_fmac_f32_e32 v42, 0x3f5db3d7, v0
	v_add_f32_e32 v0, v5, v2
	v_add_f32_e32 v3, v0, v30
	;; [unrolled: 1-line block ×3, first 2 shown]
	v_fma_f32 v44, -0.5, v0, v5
	v_sub_f32_e32 v0, v40, v35
	v_mov_b32_e32 v30, v44
	v_fmac_f32_e32 v30, 0x3f5db3d7, v0
	v_fmac_f32_e32 v44, 0xbf5db3d7, v0
	v_add_f32_e32 v0, v41, v38
	v_add_f32_e32 v5, v0, v36
	;; [unrolled: 1-line block ×4, first 2 shown]
	v_fmac_f32_e32 v41, -0.5, v0
	v_add_f32_e32 v4, v1, v35
	v_sub_f32_e32 v0, v39, v29
	v_mov_b32_e32 v1, v41
	v_fmac_f32_e32 v1, 0xbf5db3d7, v0
	v_fmac_f32_e32 v41, 0x3f5db3d7, v0
	v_add_f32_e32 v0, v7, v39
	v_add_f32_e32 v6, v0, v29
	;; [unrolled: 1-line block ×3, first 2 shown]
	v_fmac_f32_e32 v7, -0.5, v0
	v_sub_f32_e32 v0, v38, v36
	v_mov_b32_e32 v29, v7
	v_fmac_f32_e32 v29, 0x3f5db3d7, v0
	v_fmac_f32_e32 v7, 0xbf5db3d7, v0
	v_mul_f32_e32 v35, 0xbf5db3d7, v29
	v_mul_f32_e32 v36, 0.5, v29
	v_fmac_f32_e32 v35, 0.5, v1
	v_fmac_f32_e32 v36, 0x3f5db3d7, v1
	v_mul_f32_e32 v38, 0xbf5db3d7, v7
	v_mul_f32_e32 v39, -0.5, v7
	v_add_f32_e32 v0, v4, v5
	v_add_f32_e32 v2, v43, v35
	v_fmac_f32_e32 v38, -0.5, v41
	v_add_f32_e32 v1, v3, v6
	v_sub_f32_e32 v4, v4, v5
	v_sub_f32_e32 v5, v3, v6
	v_add_f32_e32 v3, v30, v36
	v_fmac_f32_e32 v39, 0x3f5db3d7, v41
	v_add_f32_e32 v6, v42, v38
	v_add_f32_e32 v7, v44, v39
	v_sub_f32_e32 v29, v43, v35
	v_sub_f32_e32 v35, v42, v38
	;; [unrolled: 1-line block ×4, first 2 shown]
	s_barrier
	ds_write2_b64 v37, v[0:1], v[2:3] offset1:6
	ds_write2_b64 v37, v[6:7], v[4:5] offset0:12 offset1:18
	ds_write2_b64 v37, v[29:30], v[35:36] offset0:24 offset1:30
	s_waitcnt lgkmcnt(0)
	s_barrier
	ds_read2_b64 v[0:3], v34 offset1:36
	ds_read2_b64 v[4:7], v34 offset0:72 offset1:108
	ds_read2_b64 v[35:38], v34 offset0:144 offset1:180
	v_mad_u64_u32 v[29:30], s[6:7], s2, v16, 0
	s_load_dwordx2 s[6:7], s[4:5], 0x38
	s_waitcnt lgkmcnt(0)
	v_mul_f32_e32 v39, v13, v3
	v_fmac_f32_e32 v39, v12, v2
	v_mul_f32_e32 v2, v13, v2
	v_fma_f32 v12, v12, v3, -v2
	v_mul_f32_e32 v2, v15, v5
	v_fmac_f32_e32 v2, v14, v4
	v_mul_f32_e32 v3, v15, v4
	v_mul_f32_e32 v4, v9, v7
	v_fma_f32 v3, v14, v5, -v3
	v_fmac_f32_e32 v4, v8, v6
	v_mul_f32_e32 v5, v9, v6
	v_mul_f32_e32 v6, v11, v36
	v_fmac_f32_e32 v6, v10, v35
	v_fma_f32 v5, v8, v7, -v5
	v_mul_f32_e32 v7, v11, v35
	v_add_f32_e32 v11, v2, v6
	v_fma_f32 v7, v10, v36, -v7
	v_fma_f32 v11, -0.5, v11, v0
	v_add_f32_e32 v10, v0, v2
	v_sub_f32_e32 v0, v3, v7
	v_mov_b32_e32 v13, v11
	v_fmac_f32_e32 v13, 0xbf5db3d7, v0
	v_fmac_f32_e32 v11, 0x3f5db3d7, v0
	v_add_f32_e32 v0, v1, v3
	v_add_f32_e32 v14, v0, v7
	;; [unrolled: 1-line block ×3, first 2 shown]
	v_mul_f32_e32 v8, v32, v38
	v_mul_f32_e32 v9, v32, v37
	v_fma_f32 v15, -0.5, v0, v1
	v_fmac_f32_e32 v8, v31, v37
	v_fma_f32 v9, v31, v38, -v9
	v_sub_f32_e32 v0, v2, v6
	v_mov_b32_e32 v31, v15
	v_fmac_f32_e32 v31, 0x3f5db3d7, v0
	v_fmac_f32_e32 v15, 0xbf5db3d7, v0
	v_add_f32_e32 v0, v39, v4
	v_add_f32_e32 v10, v10, v6
	;; [unrolled: 1-line block ×4, first 2 shown]
	v_fmac_f32_e32 v39, -0.5, v0
	v_sub_f32_e32 v0, v5, v9
	v_mov_b32_e32 v3, v39
	v_fmac_f32_e32 v3, 0xbf5db3d7, v0
	v_fmac_f32_e32 v39, 0x3f5db3d7, v0
	v_add_f32_e32 v0, v12, v5
	v_add_f32_e32 v7, v0, v9
	v_add_f32_e32 v0, v5, v9
	v_fmac_f32_e32 v12, -0.5, v0
	v_sub_f32_e32 v0, v4, v8
	v_mov_b32_e32 v5, v12
	v_fmac_f32_e32 v5, 0x3f5db3d7, v0
	v_fmac_f32_e32 v12, 0xbf5db3d7, v0
	v_mul_f32_e32 v8, 0xbf5db3d7, v5
	v_mul_f32_e32 v32, 0.5, v5
	v_fmac_f32_e32 v8, 0.5, v3
	v_mul_f32_e32 v9, 0xbf5db3d7, v12
	v_fmac_f32_e32 v32, 0x3f5db3d7, v3
	v_mul_f32_e32 v12, -0.5, v12
	v_add_f32_e32 v0, v10, v6
	v_add_f32_e32 v2, v13, v8
	v_fmac_f32_e32 v9, -0.5, v39
	v_add_f32_e32 v1, v14, v7
	v_add_f32_e32 v3, v31, v32
	v_fmac_f32_e32 v12, 0x3f5db3d7, v39
	v_add_f32_e32 v4, v11, v9
	v_add_f32_e32 v5, v15, v12
	v_sub_f32_e32 v6, v10, v6
	v_sub_f32_e32 v8, v13, v8
	;; [unrolled: 1-line block ×6, first 2 shown]
	ds_write2_b64 v34, v[0:1], v[2:3] offset1:36
	ds_write2_b64 v34, v[4:5], v[6:7] offset0:72 offset1:108
	ds_write2_b64 v34, v[8:9], v[10:11] offset0:144 offset1:180
	s_waitcnt lgkmcnt(0)
	s_barrier
	ds_read2_b64 v[0:3], v34 offset1:36
	s_mov_b32 s4, 0xbda12f68
	s_mov_b32 s5, 0x3f72f684
	v_mad_u64_u32 v[7:8], s[8:9], s0, v33, 0
	s_waitcnt lgkmcnt(0)
	v_mul_f32_e32 v5, v28, v1
	v_fmac_f32_e32 v5, v27, v0
	v_cvt_f64_f32_e32 v[5:6], v5
	v_mul_f32_e32 v0, v28, v0
	v_fma_f32 v0, v27, v1, -v0
	v_cvt_f64_f32_e32 v[0:1], v0
	v_mul_f64 v[5:6], v[5:6], s[4:5]
	v_mov_b32_e32 v4, v30
	v_mul_f64 v[0:1], v[0:1], s[4:5]
	v_mad_u64_u32 v[9:10], s[2:3], s3, v16, v[4:5]
	v_mov_b32_e32 v4, v8
	v_mad_u64_u32 v[10:11], s[2:3], s1, v33, v[4:5]
	v_mov_b32_e32 v30, v9
	v_mul_f32_e32 v9, v26, v3
	v_fmac_f32_e32 v9, v25, v2
	v_mov_b32_e32 v8, v10
	v_cvt_f64_f32_e32 v[9:10], v9
	v_cvt_f32_f64_e32 v4, v[5:6]
	v_cvt_f32_f64_e32 v5, v[0:1]
	v_lshlrev_b64 v[0:1], 3, v[29:30]
	v_mul_f32_e32 v2, v26, v2
	v_fma_f32 v2, v25, v3, -v2
	v_mov_b32_e32 v6, s7
	v_cvt_f64_f32_e32 v[2:3], v2
	v_add_co_u32_e32 v11, vcc, s6, v0
	v_addc_co_u32_e32 v12, vcc, v6, v1, vcc
	v_lshlrev_b64 v[0:1], 3, v[7:8]
	v_mul_f64 v[6:7], v[9:10], s[4:5]
	v_add_co_u32_e32 v10, vcc, v11, v0
	v_mul_f64 v[8:9], v[2:3], s[4:5]
	v_addc_co_u32_e32 v11, vcc, v12, v1, vcc
	ds_read2_b64 v[0:3], v34 offset0:72 offset1:108
	global_store_dwordx2 v[10:11], v[4:5], off
	v_cvt_f32_f64_e32 v4, v[6:7]
	s_mulk_i32 s1, 0x120
	s_mul_hi_u32 s2, s0, 0x120
	s_waitcnt lgkmcnt(0)
	v_mul_f32_e32 v6, v24, v1
	v_fmac_f32_e32 v6, v23, v0
	v_cvt_f64_f32_e32 v[6:7], v6
	v_mul_f32_e32 v0, v24, v0
	v_fma_f32 v0, v23, v1, -v0
	v_cvt_f32_f64_e32 v5, v[8:9]
	v_mul_f64 v[6:7], v[6:7], s[4:5]
	v_cvt_f64_f32_e32 v[0:1], v0
	s_add_i32 s1, s2, s1
	s_mulk_i32 s0, 0x120
	v_mov_b32_e32 v9, s1
	v_add_co_u32_e32 v8, vcc, s0, v10
	v_addc_co_u32_e32 v9, vcc, v11, v9, vcc
	global_store_dwordx2 v[8:9], v[4:5], off
	v_mul_f64 v[0:1], v[0:1], s[4:5]
	v_mul_f32_e32 v5, v22, v3
	v_fmac_f32_e32 v5, v21, v2
	v_cvt_f32_f64_e32 v4, v[6:7]
	v_cvt_f64_f32_e32 v[6:7], v5
	v_mul_f32_e32 v2, v22, v2
	v_fma_f32 v2, v21, v3, -v2
	v_cvt_f64_f32_e32 v[2:3], v2
	v_mul_f64 v[6:7], v[6:7], s[4:5]
	v_cvt_f32_f64_e32 v5, v[0:1]
	v_mov_b32_e32 v0, s1
	v_add_co_u32_e32 v8, vcc, s0, v8
	v_mul_f64 v[10:11], v[2:3], s[4:5]
	v_addc_co_u32_e32 v9, vcc, v9, v0, vcc
	ds_read2_b64 v[0:3], v34 offset0:144 offset1:180
	global_store_dwordx2 v[8:9], v[4:5], off
	v_cvt_f32_f64_e32 v4, v[6:7]
	v_add_co_u32_e32 v8, vcc, s0, v8
	s_waitcnt lgkmcnt(0)
	v_mul_f32_e32 v6, v20, v1
	v_fmac_f32_e32 v6, v19, v0
	v_mul_f32_e32 v0, v20, v0
	v_fma_f32 v0, v19, v1, -v0
	v_cvt_f32_f64_e32 v5, v[10:11]
	v_cvt_f64_f32_e32 v[6:7], v6
	v_cvt_f64_f32_e32 v[0:1], v0
	v_mov_b32_e32 v10, s1
	v_addc_co_u32_e32 v9, vcc, v9, v10, vcc
	global_store_dwordx2 v[8:9], v[4:5], off
	v_mul_f64 v[4:5], v[6:7], s[4:5]
	v_mul_f64 v[0:1], v[0:1], s[4:5]
	v_mul_f32_e32 v6, v18, v3
	v_fmac_f32_e32 v6, v17, v2
	v_mul_f32_e32 v2, v18, v2
	v_fma_f32 v2, v17, v3, -v2
	v_cvt_f64_f32_e32 v[6:7], v6
	v_cvt_f64_f32_e32 v[2:3], v2
	v_cvt_f32_f64_e32 v4, v[4:5]
	v_cvt_f32_f64_e32 v5, v[0:1]
	v_mul_f64 v[0:1], v[6:7], s[4:5]
	v_mul_f64 v[2:3], v[2:3], s[4:5]
	v_mov_b32_e32 v7, s1
	v_add_co_u32_e32 v6, vcc, s0, v8
	v_addc_co_u32_e32 v7, vcc, v9, v7, vcc
	global_store_dwordx2 v[6:7], v[4:5], off
	v_cvt_f32_f64_e32 v0, v[0:1]
	v_cvt_f32_f64_e32 v1, v[2:3]
	v_mov_b32_e32 v3, s1
	v_add_co_u32_e32 v2, vcc, s0, v6
	v_addc_co_u32_e32 v3, vcc, v7, v3, vcc
	global_store_dwordx2 v[2:3], v[0:1], off
.LBB0_2:
	s_endpgm
	.section	.rodata,"a",@progbits
	.p2align	6, 0x0
	.amdhsa_kernel bluestein_single_back_len216_dim1_sp_op_CI_CI
		.amdhsa_group_segment_fixed_size 12096
		.amdhsa_private_segment_fixed_size 0
		.amdhsa_kernarg_size 104
		.amdhsa_user_sgpr_count 6
		.amdhsa_user_sgpr_private_segment_buffer 1
		.amdhsa_user_sgpr_dispatch_ptr 0
		.amdhsa_user_sgpr_queue_ptr 0
		.amdhsa_user_sgpr_kernarg_segment_ptr 1
		.amdhsa_user_sgpr_dispatch_id 0
		.amdhsa_user_sgpr_flat_scratch_init 0
		.amdhsa_user_sgpr_private_segment_size 0
		.amdhsa_uses_dynamic_stack 0
		.amdhsa_system_sgpr_private_segment_wavefront_offset 0
		.amdhsa_system_sgpr_workgroup_id_x 1
		.amdhsa_system_sgpr_workgroup_id_y 0
		.amdhsa_system_sgpr_workgroup_id_z 0
		.amdhsa_system_sgpr_workgroup_info 0
		.amdhsa_system_vgpr_workitem_id 0
		.amdhsa_next_free_vgpr 60
		.amdhsa_next_free_sgpr 20
		.amdhsa_reserve_vcc 1
		.amdhsa_reserve_flat_scratch 0
		.amdhsa_float_round_mode_32 0
		.amdhsa_float_round_mode_16_64 0
		.amdhsa_float_denorm_mode_32 3
		.amdhsa_float_denorm_mode_16_64 3
		.amdhsa_dx10_clamp 1
		.amdhsa_ieee_mode 1
		.amdhsa_fp16_overflow 0
		.amdhsa_exception_fp_ieee_invalid_op 0
		.amdhsa_exception_fp_denorm_src 0
		.amdhsa_exception_fp_ieee_div_zero 0
		.amdhsa_exception_fp_ieee_overflow 0
		.amdhsa_exception_fp_ieee_underflow 0
		.amdhsa_exception_fp_ieee_inexact 0
		.amdhsa_exception_int_div_zero 0
	.end_amdhsa_kernel
	.text
.Lfunc_end0:
	.size	bluestein_single_back_len216_dim1_sp_op_CI_CI, .Lfunc_end0-bluestein_single_back_len216_dim1_sp_op_CI_CI
                                        ; -- End function
	.section	.AMDGPU.csdata,"",@progbits
; Kernel info:
; codeLenInByte = 3976
; NumSgprs: 24
; NumVgprs: 60
; ScratchSize: 0
; MemoryBound: 0
; FloatMode: 240
; IeeeMode: 1
; LDSByteSize: 12096 bytes/workgroup (compile time only)
; SGPRBlocks: 2
; VGPRBlocks: 14
; NumSGPRsForWavesPerEU: 24
; NumVGPRsForWavesPerEU: 60
; Occupancy: 4
; WaveLimiterHint : 1
; COMPUTE_PGM_RSRC2:SCRATCH_EN: 0
; COMPUTE_PGM_RSRC2:USER_SGPR: 6
; COMPUTE_PGM_RSRC2:TRAP_HANDLER: 0
; COMPUTE_PGM_RSRC2:TGID_X_EN: 1
; COMPUTE_PGM_RSRC2:TGID_Y_EN: 0
; COMPUTE_PGM_RSRC2:TGID_Z_EN: 0
; COMPUTE_PGM_RSRC2:TIDIG_COMP_CNT: 0
	.type	__hip_cuid_f2ace1b1547355c5,@object ; @__hip_cuid_f2ace1b1547355c5
	.section	.bss,"aw",@nobits
	.globl	__hip_cuid_f2ace1b1547355c5
__hip_cuid_f2ace1b1547355c5:
	.byte	0                               ; 0x0
	.size	__hip_cuid_f2ace1b1547355c5, 1

	.ident	"AMD clang version 19.0.0git (https://github.com/RadeonOpenCompute/llvm-project roc-6.4.0 25133 c7fe45cf4b819c5991fe208aaa96edf142730f1d)"
	.section	".note.GNU-stack","",@progbits
	.addrsig
	.addrsig_sym __hip_cuid_f2ace1b1547355c5
	.amdgpu_metadata
---
amdhsa.kernels:
  - .args:
      - .actual_access:  read_only
        .address_space:  global
        .offset:         0
        .size:           8
        .value_kind:     global_buffer
      - .actual_access:  read_only
        .address_space:  global
        .offset:         8
        .size:           8
        .value_kind:     global_buffer
      - .actual_access:  read_only
        .address_space:  global
        .offset:         16
        .size:           8
        .value_kind:     global_buffer
      - .actual_access:  read_only
        .address_space:  global
        .offset:         24
        .size:           8
        .value_kind:     global_buffer
      - .actual_access:  read_only
        .address_space:  global
        .offset:         32
        .size:           8
        .value_kind:     global_buffer
      - .offset:         40
        .size:           8
        .value_kind:     by_value
      - .address_space:  global
        .offset:         48
        .size:           8
        .value_kind:     global_buffer
      - .address_space:  global
        .offset:         56
        .size:           8
        .value_kind:     global_buffer
      - .address_space:  global
        .offset:         64
        .size:           8
        .value_kind:     global_buffer
      - .address_space:  global
        .offset:         72
        .size:           8
        .value_kind:     global_buffer
      - .offset:         80
        .size:           4
        .value_kind:     by_value
      - .address_space:  global
        .offset:         88
        .size:           8
        .value_kind:     global_buffer
      - .address_space:  global
        .offset:         96
        .size:           8
        .value_kind:     global_buffer
    .group_segment_fixed_size: 12096
    .kernarg_segment_align: 8
    .kernarg_segment_size: 104
    .language:       OpenCL C
    .language_version:
      - 2
      - 0
    .max_flat_workgroup_size: 252
    .name:           bluestein_single_back_len216_dim1_sp_op_CI_CI
    .private_segment_fixed_size: 0
    .sgpr_count:     24
    .sgpr_spill_count: 0
    .symbol:         bluestein_single_back_len216_dim1_sp_op_CI_CI.kd
    .uniform_work_group_size: 1
    .uses_dynamic_stack: false
    .vgpr_count:     60
    .vgpr_spill_count: 0
    .wavefront_size: 64
amdhsa.target:   amdgcn-amd-amdhsa--gfx906
amdhsa.version:
  - 1
  - 2
...

	.end_amdgpu_metadata
